;; amdgpu-corpus repo=ROCm/rocFFT kind=compiled arch=gfx1201 opt=O3
	.text
	.amdgcn_target "amdgcn-amd-amdhsa--gfx1201"
	.amdhsa_code_object_version 6
	.protected	fft_rtc_back_len440_factors_11_8_5_wgs_55_tpt_55_half_op_CI_CI_unitstride_sbrr_C2R_dirReg ; -- Begin function fft_rtc_back_len440_factors_11_8_5_wgs_55_tpt_55_half_op_CI_CI_unitstride_sbrr_C2R_dirReg
	.globl	fft_rtc_back_len440_factors_11_8_5_wgs_55_tpt_55_half_op_CI_CI_unitstride_sbrr_C2R_dirReg
	.p2align	8
	.type	fft_rtc_back_len440_factors_11_8_5_wgs_55_tpt_55_half_op_CI_CI_unitstride_sbrr_C2R_dirReg,@function
fft_rtc_back_len440_factors_11_8_5_wgs_55_tpt_55_half_op_CI_CI_unitstride_sbrr_C2R_dirReg: ; @fft_rtc_back_len440_factors_11_8_5_wgs_55_tpt_55_half_op_CI_CI_unitstride_sbrr_C2R_dirReg
; %bb.0:
	s_clause 0x2
	s_load_b128 s[8:11], s[0:1], 0x0
	s_load_b128 s[4:7], s[0:1], 0x58
	;; [unrolled: 1-line block ×3, first 2 shown]
	v_mul_u32_u24_e32 v1, 0x4a8, v0
	v_mov_b32_e32 v8, 0
	v_mov_b32_e32 v6, 0
	;; [unrolled: 1-line block ×3, first 2 shown]
	s_delay_alu instid0(VALU_DEP_4) | instskip(NEXT) | instid1(VALU_DEP_1)
	v_lshrrev_b32_e32 v1, 16, v1
	v_dual_mov_b32 v11, v8 :: v_dual_add_nc_u32 v10, ttmp9, v1
	s_wait_kmcnt 0x0
	v_cmp_lt_u64_e64 s2, s[10:11], 2
	s_delay_alu instid0(VALU_DEP_1)
	s_and_b32 vcc_lo, exec_lo, s2
	s_cbranch_vccnz .LBB0_8
; %bb.1:
	s_load_b64 s[2:3], s[0:1], 0x10
	v_mov_b32_e32 v6, 0
	v_mov_b32_e32 v7, 0
	s_delay_alu instid0(VALU_DEP_2)
	v_mov_b32_e32 v1, v6
	s_add_nc_u64 s[16:17], s[14:15], 8
	s_add_nc_u64 s[18:19], s[12:13], 8
	s_mov_b64 s[20:21], 1
	v_mov_b32_e32 v2, v7
	s_wait_kmcnt 0x0
	s_add_nc_u64 s[22:23], s[2:3], 8
	s_mov_b32 s3, 0
.LBB0_2:                                ; =>This Inner Loop Header: Depth=1
	s_load_b64 s[24:25], s[22:23], 0x0
                                        ; implicit-def: $vgpr3_vgpr4
	s_mov_b32 s2, exec_lo
	s_wait_kmcnt 0x0
	v_or_b32_e32 v9, s25, v11
	s_delay_alu instid0(VALU_DEP_1)
	v_cmpx_ne_u64_e32 0, v[8:9]
	s_wait_alu 0xfffe
	s_xor_b32 s26, exec_lo, s2
	s_cbranch_execz .LBB0_4
; %bb.3:                                ;   in Loop: Header=BB0_2 Depth=1
	s_cvt_f32_u32 s2, s24
	s_cvt_f32_u32 s27, s25
	s_sub_nc_u64 s[30:31], 0, s[24:25]
	s_wait_alu 0xfffe
	s_delay_alu instid0(SALU_CYCLE_1) | instskip(SKIP_1) | instid1(SALU_CYCLE_2)
	s_fmamk_f32 s2, s27, 0x4f800000, s2
	s_wait_alu 0xfffe
	v_s_rcp_f32 s2, s2
	s_delay_alu instid0(TRANS32_DEP_1) | instskip(SKIP_1) | instid1(SALU_CYCLE_2)
	s_mul_f32 s2, s2, 0x5f7ffffc
	s_wait_alu 0xfffe
	s_mul_f32 s27, s2, 0x2f800000
	s_wait_alu 0xfffe
	s_delay_alu instid0(SALU_CYCLE_2) | instskip(SKIP_1) | instid1(SALU_CYCLE_2)
	s_trunc_f32 s27, s27
	s_wait_alu 0xfffe
	s_fmamk_f32 s2, s27, 0xcf800000, s2
	s_cvt_u32_f32 s29, s27
	s_wait_alu 0xfffe
	s_delay_alu instid0(SALU_CYCLE_1) | instskip(SKIP_1) | instid1(SALU_CYCLE_2)
	s_cvt_u32_f32 s28, s2
	s_wait_alu 0xfffe
	s_mul_u64 s[34:35], s[30:31], s[28:29]
	s_wait_alu 0xfffe
	s_mul_hi_u32 s37, s28, s35
	s_mul_i32 s36, s28, s35
	s_mul_hi_u32 s2, s28, s34
	s_mul_i32 s33, s29, s34
	s_wait_alu 0xfffe
	s_add_nc_u64 s[36:37], s[2:3], s[36:37]
	s_mul_hi_u32 s27, s29, s34
	s_mul_hi_u32 s38, s29, s35
	s_add_co_u32 s2, s36, s33
	s_wait_alu 0xfffe
	s_add_co_ci_u32 s2, s37, s27
	s_mul_i32 s34, s29, s35
	s_add_co_ci_u32 s35, s38, 0
	s_wait_alu 0xfffe
	s_add_nc_u64 s[34:35], s[2:3], s[34:35]
	s_wait_alu 0xfffe
	v_add_co_u32 v3, s2, s28, s34
	s_delay_alu instid0(VALU_DEP_1) | instskip(SKIP_1) | instid1(VALU_DEP_1)
	s_cmp_lg_u32 s2, 0
	s_add_co_ci_u32 s29, s29, s35
	v_readfirstlane_b32 s28, v3
	s_wait_alu 0xfffe
	s_delay_alu instid0(VALU_DEP_1)
	s_mul_u64 s[30:31], s[30:31], s[28:29]
	s_wait_alu 0xfffe
	s_mul_hi_u32 s35, s28, s31
	s_mul_i32 s34, s28, s31
	s_mul_hi_u32 s2, s28, s30
	s_mul_i32 s33, s29, s30
	s_wait_alu 0xfffe
	s_add_nc_u64 s[34:35], s[2:3], s[34:35]
	s_mul_hi_u32 s27, s29, s30
	s_mul_hi_u32 s28, s29, s31
	s_wait_alu 0xfffe
	s_add_co_u32 s2, s34, s33
	s_add_co_ci_u32 s2, s35, s27
	s_mul_i32 s30, s29, s31
	s_add_co_ci_u32 s31, s28, 0
	s_wait_alu 0xfffe
	s_add_nc_u64 s[30:31], s[2:3], s[30:31]
	s_wait_alu 0xfffe
	v_add_co_u32 v5, s2, v3, s30
	s_delay_alu instid0(VALU_DEP_1) | instskip(SKIP_1) | instid1(VALU_DEP_1)
	s_cmp_lg_u32 s2, 0
	s_add_co_ci_u32 s2, s29, s31
	v_mul_hi_u32 v9, v10, v5
	s_wait_alu 0xfffe
	v_mad_co_u64_u32 v[3:4], null, v10, s2, 0
	v_mad_co_u64_u32 v[12:13], null, v11, v5, 0
	;; [unrolled: 1-line block ×3, first 2 shown]
	s_delay_alu instid0(VALU_DEP_3) | instskip(SKIP_1) | instid1(VALU_DEP_4)
	v_add_co_u32 v3, vcc_lo, v9, v3
	s_wait_alu 0xfffd
	v_add_co_ci_u32_e32 v4, vcc_lo, 0, v4, vcc_lo
	s_delay_alu instid0(VALU_DEP_2) | instskip(SKIP_1) | instid1(VALU_DEP_2)
	v_add_co_u32 v3, vcc_lo, v3, v12
	s_wait_alu 0xfffd
	v_add_co_ci_u32_e32 v3, vcc_lo, v4, v13, vcc_lo
	s_wait_alu 0xfffd
	v_add_co_ci_u32_e32 v4, vcc_lo, 0, v15, vcc_lo
	s_delay_alu instid0(VALU_DEP_2) | instskip(SKIP_1) | instid1(VALU_DEP_2)
	v_add_co_u32 v5, vcc_lo, v3, v14
	s_wait_alu 0xfffd
	v_add_co_ci_u32_e32 v9, vcc_lo, 0, v4, vcc_lo
	s_delay_alu instid0(VALU_DEP_2) | instskip(SKIP_1) | instid1(VALU_DEP_3)
	v_mul_lo_u32 v12, s25, v5
	v_mad_co_u64_u32 v[3:4], null, s24, v5, 0
	v_mul_lo_u32 v13, s24, v9
	s_delay_alu instid0(VALU_DEP_2) | instskip(NEXT) | instid1(VALU_DEP_2)
	v_sub_co_u32 v3, vcc_lo, v10, v3
	v_add3_u32 v4, v4, v13, v12
	s_delay_alu instid0(VALU_DEP_1) | instskip(SKIP_1) | instid1(VALU_DEP_1)
	v_sub_nc_u32_e32 v12, v11, v4
	s_wait_alu 0xfffd
	v_subrev_co_ci_u32_e64 v12, s2, s25, v12, vcc_lo
	v_add_co_u32 v13, s2, v5, 2
	s_wait_alu 0xf1ff
	v_add_co_ci_u32_e64 v14, s2, 0, v9, s2
	v_sub_co_u32 v15, s2, v3, s24
	v_sub_co_ci_u32_e32 v4, vcc_lo, v11, v4, vcc_lo
	s_wait_alu 0xf1ff
	v_subrev_co_ci_u32_e64 v12, s2, 0, v12, s2
	s_delay_alu instid0(VALU_DEP_3) | instskip(NEXT) | instid1(VALU_DEP_3)
	v_cmp_le_u32_e32 vcc_lo, s24, v15
	v_cmp_eq_u32_e64 s2, s25, v4
	s_wait_alu 0xfffd
	v_cndmask_b32_e64 v15, 0, -1, vcc_lo
	v_cmp_le_u32_e32 vcc_lo, s25, v12
	s_wait_alu 0xfffd
	v_cndmask_b32_e64 v16, 0, -1, vcc_lo
	v_cmp_le_u32_e32 vcc_lo, s24, v3
	;; [unrolled: 3-line block ×3, first 2 shown]
	s_wait_alu 0xfffd
	v_cndmask_b32_e64 v17, 0, -1, vcc_lo
	v_cmp_eq_u32_e32 vcc_lo, s25, v12
	s_wait_alu 0xf1ff
	s_delay_alu instid0(VALU_DEP_2)
	v_cndmask_b32_e64 v3, v17, v3, s2
	s_wait_alu 0xfffd
	v_cndmask_b32_e32 v12, v16, v15, vcc_lo
	v_add_co_u32 v15, vcc_lo, v5, 1
	s_wait_alu 0xfffd
	v_add_co_ci_u32_e32 v16, vcc_lo, 0, v9, vcc_lo
	s_delay_alu instid0(VALU_DEP_3) | instskip(SKIP_2) | instid1(VALU_DEP_3)
	v_cmp_ne_u32_e32 vcc_lo, 0, v12
	s_wait_alu 0xfffd
	v_cndmask_b32_e32 v12, v15, v13, vcc_lo
	v_cndmask_b32_e32 v4, v16, v14, vcc_lo
	v_cmp_ne_u32_e32 vcc_lo, 0, v3
	s_wait_alu 0xfffd
	s_delay_alu instid0(VALU_DEP_3) | instskip(NEXT) | instid1(VALU_DEP_3)
	v_cndmask_b32_e32 v3, v5, v12, vcc_lo
	v_cndmask_b32_e32 v4, v9, v4, vcc_lo
.LBB0_4:                                ;   in Loop: Header=BB0_2 Depth=1
	s_wait_alu 0xfffe
	s_and_not1_saveexec_b32 s2, s26
	s_cbranch_execz .LBB0_6
; %bb.5:                                ;   in Loop: Header=BB0_2 Depth=1
	v_cvt_f32_u32_e32 v3, s24
	s_sub_co_i32 s26, 0, s24
	s_delay_alu instid0(VALU_DEP_1) | instskip(NEXT) | instid1(TRANS32_DEP_1)
	v_rcp_iflag_f32_e32 v3, v3
	v_mul_f32_e32 v3, 0x4f7ffffe, v3
	s_delay_alu instid0(VALU_DEP_1) | instskip(SKIP_1) | instid1(VALU_DEP_1)
	v_cvt_u32_f32_e32 v3, v3
	s_wait_alu 0xfffe
	v_mul_lo_u32 v4, s26, v3
	s_delay_alu instid0(VALU_DEP_1) | instskip(NEXT) | instid1(VALU_DEP_1)
	v_mul_hi_u32 v4, v3, v4
	v_add_nc_u32_e32 v3, v3, v4
	s_delay_alu instid0(VALU_DEP_1) | instskip(NEXT) | instid1(VALU_DEP_1)
	v_mul_hi_u32 v3, v10, v3
	v_mul_lo_u32 v4, v3, s24
	v_add_nc_u32_e32 v5, 1, v3
	s_delay_alu instid0(VALU_DEP_2) | instskip(NEXT) | instid1(VALU_DEP_1)
	v_sub_nc_u32_e32 v4, v10, v4
	v_subrev_nc_u32_e32 v9, s24, v4
	v_cmp_le_u32_e32 vcc_lo, s24, v4
	s_wait_alu 0xfffd
	s_delay_alu instid0(VALU_DEP_2) | instskip(SKIP_1) | instid1(VALU_DEP_2)
	v_cndmask_b32_e32 v4, v4, v9, vcc_lo
	v_cndmask_b32_e32 v3, v3, v5, vcc_lo
	v_cmp_le_u32_e32 vcc_lo, s24, v4
	s_delay_alu instid0(VALU_DEP_2) | instskip(SKIP_1) | instid1(VALU_DEP_1)
	v_dual_mov_b32 v4, v8 :: v_dual_add_nc_u32 v5, 1, v3
	s_wait_alu 0xfffd
	v_cndmask_b32_e32 v3, v3, v5, vcc_lo
.LBB0_6:                                ;   in Loop: Header=BB0_2 Depth=1
	s_wait_alu 0xfffe
	s_or_b32 exec_lo, exec_lo, s2
	v_mul_lo_u32 v5, v4, s24
	s_delay_alu instid0(VALU_DEP_2)
	v_mul_lo_u32 v9, v3, s25
	s_load_b64 s[26:27], s[18:19], 0x0
	v_mad_co_u64_u32 v[12:13], null, v3, s24, 0
	s_load_b64 s[24:25], s[16:17], 0x0
	s_add_nc_u64 s[20:21], s[20:21], 1
	s_add_nc_u64 s[16:17], s[16:17], 8
	s_wait_alu 0xfffe
	v_cmp_ge_u64_e64 s2, s[20:21], s[10:11]
	s_add_nc_u64 s[18:19], s[18:19], 8
	s_add_nc_u64 s[22:23], s[22:23], 8
	v_add3_u32 v5, v13, v9, v5
	v_sub_co_u32 v9, vcc_lo, v10, v12
	s_wait_alu 0xfffd
	s_delay_alu instid0(VALU_DEP_2) | instskip(SKIP_2) | instid1(VALU_DEP_1)
	v_sub_co_ci_u32_e32 v5, vcc_lo, v11, v5, vcc_lo
	s_and_b32 vcc_lo, exec_lo, s2
	s_wait_kmcnt 0x0
	v_mul_lo_u32 v10, s26, v5
	v_mul_lo_u32 v11, s27, v9
	v_mad_co_u64_u32 v[6:7], null, s26, v9, v[6:7]
	v_mul_lo_u32 v5, s24, v5
	v_mul_lo_u32 v12, s25, v9
	v_mad_co_u64_u32 v[1:2], null, s24, v9, v[1:2]
	s_delay_alu instid0(VALU_DEP_4) | instskip(NEXT) | instid1(VALU_DEP_2)
	v_add3_u32 v7, v11, v7, v10
	v_add3_u32 v2, v12, v2, v5
	s_wait_alu 0xfffe
	s_cbranch_vccnz .LBB0_9
; %bb.7:                                ;   in Loop: Header=BB0_2 Depth=1
	v_dual_mov_b32 v11, v4 :: v_dual_mov_b32 v10, v3
	s_branch .LBB0_2
.LBB0_8:
	v_dual_mov_b32 v1, v6 :: v_dual_mov_b32 v2, v7
	v_dual_mov_b32 v3, v10 :: v_dual_mov_b32 v4, v11
.LBB0_9:
	s_load_b64 s[0:1], s[0:1], 0x28
	v_mul_hi_u32 v8, 0x4a7904b, v0
	s_lshl_b64 s[10:11], s[10:11], 3
                                        ; implicit-def: $vgpr5
	s_wait_alu 0xfffe
	s_add_nc_u64 s[2:3], s[14:15], s[10:11]
	s_wait_kmcnt 0x0
	v_cmp_gt_u64_e32 vcc_lo, s[0:1], v[3:4]
	v_cmp_le_u64_e64 s0, s[0:1], v[3:4]
	s_delay_alu instid0(VALU_DEP_1)
	s_and_saveexec_b32 s1, s0
	s_wait_alu 0xfffe
	s_xor_b32 s0, exec_lo, s1
; %bb.10:
	v_mul_u32_u24_e32 v5, 55, v8
                                        ; implicit-def: $vgpr8
                                        ; implicit-def: $vgpr6_vgpr7
	s_delay_alu instid0(VALU_DEP_1)
	v_sub_nc_u32_e32 v5, v0, v5
                                        ; implicit-def: $vgpr0
; %bb.11:
	s_wait_alu 0xfffe
	s_or_saveexec_b32 s1, s0
	s_load_b64 s[2:3], s[2:3], 0x0
	s_xor_b32 exec_lo, exec_lo, s1
	s_cbranch_execz .LBB0_15
; %bb.12:
	s_add_nc_u64 s[10:11], s[12:13], s[10:11]
	v_lshlrev_b64_e32 v[6:7], 2, v[6:7]
	s_load_b64 s[10:11], s[10:11], 0x0
	s_wait_kmcnt 0x0
	v_mul_lo_u32 v5, s11, v3
	v_mul_lo_u32 v11, s10, v4
	v_mad_co_u64_u32 v[9:10], null, s10, v3, 0
	s_delay_alu instid0(VALU_DEP_1) | instskip(SKIP_1) | instid1(VALU_DEP_2)
	v_add3_u32 v10, v10, v11, v5
	v_mul_u32_u24_e32 v5, 55, v8
	v_lshlrev_b64_e32 v[8:9], 2, v[9:10]
	s_delay_alu instid0(VALU_DEP_2) | instskip(NEXT) | instid1(VALU_DEP_1)
	v_sub_nc_u32_e32 v5, v0, v5
	v_lshlrev_b32_e32 v10, 2, v5
	s_delay_alu instid0(VALU_DEP_3) | instskip(SKIP_1) | instid1(VALU_DEP_4)
	v_add_co_u32 v0, s0, s4, v8
	s_wait_alu 0xf1ff
	v_add_co_ci_u32_e64 v8, s0, s5, v9, s0
	s_mov_b32 s4, exec_lo
	s_delay_alu instid0(VALU_DEP_2) | instskip(SKIP_1) | instid1(VALU_DEP_2)
	v_add_co_u32 v6, s0, v0, v6
	s_wait_alu 0xf1ff
	v_add_co_ci_u32_e64 v7, s0, v8, v7, s0
	s_delay_alu instid0(VALU_DEP_2) | instskip(SKIP_1) | instid1(VALU_DEP_2)
	v_add_co_u32 v8, s0, v6, v10
	s_wait_alu 0xf1ff
	v_add_co_ci_u32_e64 v9, s0, 0, v7, s0
	s_clause 0x7
	global_load_b32 v0, v[8:9], off
	global_load_b32 v11, v[8:9], off offset:220
	global_load_b32 v12, v[8:9], off offset:440
	;; [unrolled: 1-line block ×7, first 2 shown]
	v_add_nc_u32_e32 v9, 0, v10
	s_delay_alu instid0(VALU_DEP_1)
	v_add_nc_u32_e32 v10, 0x200, v9
	v_add_nc_u32_e32 v17, 0x400, v9
	s_wait_loadcnt 0x6
	ds_store_2addr_b32 v9, v0, v11 offset1:55
	s_wait_loadcnt 0x4
	ds_store_2addr_b32 v9, v12, v13 offset0:110 offset1:165
	s_wait_loadcnt 0x2
	ds_store_2addr_b32 v10, v14, v15 offset0:92 offset1:147
	;; [unrolled: 2-line block ×3, first 2 shown]
	v_cmpx_eq_u32_e32 54, v5
	s_cbranch_execz .LBB0_14
; %bb.13:
	global_load_b32 v0, v[6:7], off offset:1760
	v_dual_mov_b32 v6, 0 :: v_dual_mov_b32 v5, 54
	s_wait_loadcnt 0x0
	ds_store_b32 v6, v0 offset:1760
.LBB0_14:
	s_wait_alu 0xfffe
	s_or_b32 exec_lo, exec_lo, s4
.LBB0_15:
	s_delay_alu instid0(SALU_CYCLE_1)
	s_or_b32 exec_lo, exec_lo, s1
	v_lshlrev_b32_e32 v7, 2, v5
	global_wb scope:SCOPE_SE
	s_wait_dscnt 0x0
	s_wait_kmcnt 0x0
	s_barrier_signal -1
	s_barrier_wait -1
	global_inv scope:SCOPE_SE
	v_add_nc_u32_e32 v0, 0, v7
	v_sub_nc_u32_e32 v10, 0, v7
	s_mov_b32 s1, exec_lo
                                        ; implicit-def: $vgpr8_vgpr9
	ds_load_u16 v13, v0
	ds_load_u16 v14, v10 offset:1760
	s_wait_dscnt 0x0
	v_add_f16_e32 v12, v14, v13
	v_sub_f16_e32 v11, v13, v14
	v_cmpx_ne_u32_e32 0, v5
	s_wait_alu 0xfffe
	s_xor_b32 s1, exec_lo, s1
	s_cbranch_execz .LBB0_17
; %bb.16:
	v_mov_b32_e32 v6, 0
	v_add_f16_e32 v12, v14, v13
	v_sub_f16_e32 v13, v13, v14
	s_delay_alu instid0(VALU_DEP_3) | instskip(NEXT) | instid1(VALU_DEP_1)
	v_lshlrev_b64_e32 v[8:9], 2, v[5:6]
	v_add_co_u32 v8, s0, s8, v8
	s_wait_alu 0xf1ff
	s_delay_alu instid0(VALU_DEP_2)
	v_add_co_ci_u32_e64 v9, s0, s9, v9, s0
	global_load_b32 v8, v[8:9], off offset:1716
	ds_load_u16 v9, v10 offset:1762
	ds_load_u16 v11, v0 offset:2
	s_wait_dscnt 0x0
	v_add_f16_e32 v14, v9, v11
	v_sub_f16_e32 v9, v11, v9
	s_wait_loadcnt 0x0
	v_lshrrev_b32_e32 v15, 16, v8
	s_delay_alu instid0(VALU_DEP_1) | instskip(NEXT) | instid1(VALU_DEP_3)
	v_fma_f16 v16, -v13, v15, v12
	v_fma_f16 v17, v14, v15, -v9
	v_fma_f16 v11, v14, v15, v9
	v_fma_f16 v12, v13, v15, v12
	s_delay_alu instid0(VALU_DEP_4) | instskip(NEXT) | instid1(VALU_DEP_4)
	v_fmac_f16_e32 v16, v8, v14
	v_fmac_f16_e32 v17, v13, v8
	s_delay_alu instid0(VALU_DEP_4) | instskip(NEXT) | instid1(VALU_DEP_4)
	v_fmac_f16_e32 v11, v13, v8
	v_fma_f16 v12, -v8, v14, v12
	v_dual_mov_b32 v9, v6 :: v_dual_mov_b32 v8, v5
	s_delay_alu instid0(VALU_DEP_4)
	v_pack_b32_f16 v13, v16, v17
	ds_store_b32 v10, v13 offset:1760
.LBB0_17:
	s_wait_alu 0xfffe
	s_and_not1_saveexec_b32 s0, s1
	s_cbranch_execz .LBB0_19
; %bb.18:
	v_mov_b32_e32 v6, 0
	ds_load_b32 v8, v6 offset:880
	s_wait_dscnt 0x0
	v_pk_mul_f16 v13, 0xc0004000, v8
	v_mov_b32_e32 v8, 0
	v_mov_b32_e32 v9, 0
	ds_store_b32 v6, v13 offset:880
.LBB0_19:
	s_wait_alu 0xfffe
	s_or_b32 exec_lo, exec_lo, s0
	v_lshlrev_b64_e32 v[8:9], 2, v[8:9]
	s_add_nc_u64 s[0:1], s[8:9], 0x6b4
	v_add_nc_u32_e32 v22, 0x400, v0
	v_add_nc_u32_e32 v21, 0x200, v0
	s_wait_alu 0xfffe
	s_delay_alu instid0(VALU_DEP_3)
	v_add_co_u32 v8, s0, s0, v8
	s_wait_alu 0xf1ff
	v_add_co_ci_u32_e64 v9, s0, s1, v9, s0
	s_mov_b32 s1, exec_lo
	s_clause 0x2
	global_load_b32 v6, v[8:9], off offset:220
	global_load_b32 v13, v[8:9], off offset:440
	;; [unrolled: 1-line block ×3, first 2 shown]
	v_perm_b32 v9, v11, v12, 0x5040100
	ds_store_b32 v0, v9
	ds_load_b32 v9, v0 offset:220
	ds_load_b32 v11, v10 offset:1540
	s_wait_dscnt 0x1
	v_lshrrev_b32_e32 v12, 16, v9
	s_wait_dscnt 0x0
	v_lshrrev_b32_e32 v14, 16, v11
	v_add_f16_e32 v15, v9, v11
	v_sub_f16_e32 v9, v9, v11
	s_delay_alu instid0(VALU_DEP_3) | instskip(SKIP_3) | instid1(VALU_DEP_1)
	v_add_f16_e32 v11, v14, v12
	v_sub_f16_e32 v12, v12, v14
	s_wait_loadcnt 0x2
	v_lshrrev_b32_e32 v16, 16, v6
	v_fma_f16 v14, v9, v16, v15
	s_delay_alu instid0(VALU_DEP_3) | instskip(SKIP_2) | instid1(VALU_DEP_4)
	v_fma_f16 v17, v11, v16, v12
	v_fma_f16 v15, -v9, v16, v15
	v_fma_f16 v12, v11, v16, -v12
	v_fma_f16 v14, -v6, v11, v14
	s_delay_alu instid0(VALU_DEP_4) | instskip(NEXT) | instid1(VALU_DEP_4)
	v_fmac_f16_e32 v17, v9, v6
	v_fmac_f16_e32 v15, v6, v11
	s_delay_alu instid0(VALU_DEP_4) | instskip(NEXT) | instid1(VALU_DEP_3)
	v_fmac_f16_e32 v12, v9, v6
	v_pack_b32_f16 v6, v14, v17
	s_wait_loadcnt 0x1
	v_lshrrev_b32_e32 v14, 16, v13
	s_delay_alu instid0(VALU_DEP_3)
	v_pack_b32_f16 v9, v15, v12
	ds_store_b32 v0, v6 offset:220
	ds_store_b32 v10, v9 offset:1540
	ds_load_b32 v6, v0 offset:440
	ds_load_b32 v9, v10 offset:1320
	s_wait_dscnt 0x1
	v_lshrrev_b32_e32 v11, 16, v6
	s_wait_dscnt 0x0
	v_lshrrev_b32_e32 v12, 16, v9
	v_add_f16_e32 v15, v6, v9
	v_sub_f16_e32 v6, v6, v9
	s_delay_alu instid0(VALU_DEP_3) | instskip(SKIP_1) | instid1(VALU_DEP_3)
	v_add_f16_e32 v9, v12, v11
	v_sub_f16_e32 v11, v11, v12
	v_fma_f16 v12, v6, v14, v15
	v_fma_f16 v15, -v6, v14, v15
	s_delay_alu instid0(VALU_DEP_3) | instskip(SKIP_1) | instid1(VALU_DEP_4)
	v_fma_f16 v16, v9, v14, v11
	v_fma_f16 v11, v9, v14, -v11
	v_fma_f16 v12, -v13, v9, v12
	s_delay_alu instid0(VALU_DEP_4) | instskip(NEXT) | instid1(VALU_DEP_4)
	v_fmac_f16_e32 v15, v13, v9
	v_fmac_f16_e32 v16, v6, v13
	s_delay_alu instid0(VALU_DEP_4) | instskip(SKIP_2) | instid1(VALU_DEP_3)
	v_fmac_f16_e32 v11, v6, v13
	s_wait_loadcnt 0x0
	v_lshrrev_b32_e32 v13, 16, v8
	v_pack_b32_f16 v6, v12, v16
	s_delay_alu instid0(VALU_DEP_3)
	v_pack_b32_f16 v9, v15, v11
	ds_store_b32 v0, v6 offset:440
	ds_store_b32 v10, v9 offset:1320
	ds_load_b32 v6, v0 offset:660
	ds_load_b32 v9, v10 offset:1100
	s_wait_dscnt 0x1
	v_lshrrev_b32_e32 v11, 16, v6
	s_wait_dscnt 0x0
	v_lshrrev_b32_e32 v12, 16, v9
	v_add_f16_e32 v14, v6, v9
	v_sub_f16_e32 v6, v6, v9
	s_delay_alu instid0(VALU_DEP_3) | instskip(SKIP_1) | instid1(VALU_DEP_3)
	v_add_f16_e32 v9, v12, v11
	v_sub_f16_e32 v11, v11, v12
	v_fma_f16 v12, v6, v13, v14
	v_fma_f16 v14, -v6, v13, v14
	s_delay_alu instid0(VALU_DEP_3) | instskip(SKIP_1) | instid1(VALU_DEP_4)
	v_fma_f16 v15, v9, v13, v11
	v_fma_f16 v11, v9, v13, -v11
	v_fma_f16 v12, -v8, v9, v12
	s_delay_alu instid0(VALU_DEP_4) | instskip(NEXT) | instid1(VALU_DEP_4)
	v_fmac_f16_e32 v14, v8, v9
	v_fmac_f16_e32 v15, v6, v8
	s_delay_alu instid0(VALU_DEP_4) | instskip(NEXT) | instid1(VALU_DEP_2)
	v_fmac_f16_e32 v11, v6, v8
	v_pack_b32_f16 v6, v12, v15
	s_delay_alu instid0(VALU_DEP_2)
	v_pack_b32_f16 v8, v14, v11
	ds_store_b32 v0, v6 offset:660
	ds_store_b32 v10, v8 offset:1100
	global_wb scope:SCOPE_SE
	s_wait_dscnt 0x0
	s_barrier_signal -1
	s_barrier_wait -1
	global_inv scope:SCOPE_SE
	global_wb scope:SCOPE_SE
	s_barrier_signal -1
	s_barrier_wait -1
	global_inv scope:SCOPE_SE
	ds_load_2addr_b32 v[8:9], v0 offset1:40
	ds_load_b32 v33, v0 offset:1600
	ds_load_2addr_b32 v[17:18], v0 offset0:80 offset1:120
	ds_load_2addr_b32 v[11:12], v22 offset0:64 offset1:104
	ds_load_2addr_b32 v[15:16], v0 offset0:160 offset1:200
	ds_load_2addr_b32 v[13:14], v21 offset0:112 offset1:152
	global_wb scope:SCOPE_SE
	s_wait_dscnt 0x0
	s_barrier_signal -1
	s_barrier_wait -1
	global_inv scope:SCOPE_SE
	v_lshrrev_b32_e32 v34, 16, v8
	v_pk_add_f16 v25, v33, v9
	v_pk_add_f16 v27, v9, v33 neg_lo:[0,1] neg_hi:[0,1]
	v_pk_add_f16 v28, v12, v17
	v_pk_add_f16 v29, v17, v12 neg_lo:[0,1] neg_hi:[0,1]
	v_pk_add_f16 v30, v11, v18
	v_lshrrev_b32_e32 v10, 16, v25
	v_lshrrev_b32_e32 v6, 16, v27
	v_pk_add_f16 v31, v18, v11 neg_lo:[0,1] neg_hi:[0,1]
	v_pk_add_f16 v23, v14, v15
	v_pk_add_f16 v32, v15, v14 neg_lo:[0,1] neg_hi:[0,1]
	v_pk_add_f16 v24, v13, v16
	v_pk_add_f16 v26, v16, v13 neg_lo:[0,1] neg_hi:[0,1]
	v_lshrrev_b32_e32 v19, 16, v29
	v_lshrrev_b32_e32 v20, 16, v28
	v_mul_f16_e32 v41, 0xbb47, v6
	v_mul_f16_e32 v44, 0x36a6, v10
	;; [unrolled: 1-line block ×4, first 2 shown]
	v_lshrrev_b32_e32 v35, 16, v31
	v_lshrrev_b32_e32 v36, 16, v30
	;; [unrolled: 1-line block ×6, first 2 shown]
	v_mul_f16_e32 v38, 0xba0c, v19
	v_mul_f16_e32 v43, 0xb93d, v20
	;; [unrolled: 1-line block ×4, first 2 shown]
	v_fma_f16 v6, v25, 0x36a6, -v41
	v_fmamk_f16 v10, v27, 0xbb47, v44
	v_fma_f16 v19, v25, 0xb08e, -v49
	v_fmamk_f16 v20, v27, 0xbbeb, v54
	v_mul_f16_e32 v37, 0x3482, v35
	v_mul_f16_e32 v42, 0xbbad, v36
	;; [unrolled: 1-line block ×12, first 2 shown]
	v_fma_f16 v55, v28, 0xb93d, -v38
	v_fmamk_f16 v56, v29, 0xba0c, v43
	v_fma_f16 v57, v28, 0xbbad, -v48
	v_fmamk_f16 v58, v29, 0x3482, v53
	v_add_f16_e32 v6, v8, v6
	v_add_f16_e32 v10, v34, v10
	v_add_f16_e32 v19, v8, v19
	v_add_f16_e32 v20, v34, v20
	v_fma_f16 v59, v30, 0xbbad, -v37
	v_fmamk_f16 v60, v31, 0x3482, v42
	v_fma_f16 v61, v30, 0x36a6, -v47
	v_fmamk_f16 v62, v31, 0x3b47, v52
	v_add_f16_e32 v6, v55, v6
	v_add_f16_e32 v10, v56, v10
	v_add_f16_e32 v19, v57, v19
	v_add_f16_e32 v20, v58, v20
	;; [unrolled: 8-line block ×4, first 2 shown]
	s_delay_alu instid0(VALU_DEP_4) | instskip(NEXT) | instid1(VALU_DEP_4)
	v_add_f16_e32 v6, v67, v6
	v_add_f16_e32 v19, v68, v10
	s_delay_alu instid0(VALU_DEP_4) | instskip(NEXT) | instid1(VALU_DEP_4)
	v_add_f16_e32 v10, v55, v57
	v_add_f16_e32 v20, v56, v20
	v_cmpx_gt_u32_e32 40, v5
	s_cbranch_execz .LBB0_21
; %bb.20:
	v_mul_f16_e32 v56, 0xbb47, v27
	v_mul_f16_e32 v58, 0xbbeb, v27
	;; [unrolled: 1-line block ×5, first 2 shown]
	v_sub_f16_e32 v44, v44, v56
	v_sub_f16_e32 v54, v54, v58
	v_mul_f16_e32 v59, 0xb93d, v28
	v_mul_f16_e32 v61, 0xbbad, v28
	;; [unrolled: 1-line block ×4, first 2 shown]
	v_add_f16_e32 v54, v34, v54
	v_add_f16_e32 v49, v57, v49
	;; [unrolled: 1-line block ×3, first 2 shown]
	v_sub_f16_e32 v43, v43, v60
	v_add_f16_e32 v41, v55, v41
	v_pk_add_f16 v9, v8, v9
	v_mul_f16_e32 v63, 0xbbad, v30
	v_sub_f16_e32 v53, v53, v62
	v_mul_f16_e32 v62, 0x3beb, v32
	v_add_f16_e32 v49, v8, v49
	v_add_f16_e32 v48, v61, v48
	;; [unrolled: 1-line block ×3, first 2 shown]
	v_sub_f16_e32 v42, v42, v58
	v_add_f16_e32 v41, v8, v41
	v_add_f16_e32 v38, v59, v38
	v_pk_add_f16 v9, v9, v17
	v_mul_f16_e32 v66, 0xb08e, v23
	v_add_f16_e32 v48, v48, v49
	v_mul_f16_e32 v49, 0x3853, v26
	v_add_f16_e32 v34, v42, v34
	v_sub_f16_e32 v40, v40, v62
	v_add_f16_e32 v38, v38, v41
	v_add_f16_e32 v37, v63, v37
	v_pk_add_f16 v9, v9, v18
	v_pk_mul_f16 v18, 0xb853, v27 op_sel_hi:[0,1]
	v_mul_f16_e32 v64, 0x36a6, v30
	v_add_f16_e32 v34, v40, v34
	v_sub_f16_e32 v39, v39, v49
	v_add_f16_e32 v37, v37, v38
	v_add_f16_e32 v36, v66, v36
	v_pk_add_f16 v9, v9, v15
	v_pk_fma_f16 v15, 0x3abb, v25, v18 op_sel:[0,0,1] op_sel_hi:[0,1,0]
	v_pk_fma_f16 v18, 0x3abb, v25, v18 op_sel:[0,0,1] op_sel_hi:[0,1,0] neg_lo:[0,0,1] neg_hi:[0,0,1]
	v_pk_mul_f16 v38, 0xbb47, v29 op_sel_hi:[0,1]
	v_mul_f16_e32 v57, 0x3abb, v23
	v_add_f16_e32 v53, v53, v54
	v_mul_f16_e32 v54, 0x3abb, v24
	v_add_f16_e32 v47, v64, v47
	v_add_f16_e32 v34, v39, v34
	v_add_f16_e32 v36, v36, v37
	v_pk_add_f16 v9, v9, v16
	v_bfi_b32 v16, 0xffff, v15, v18
	v_pk_fma_f16 v37, 0x36a6, v28, v38 op_sel:[0,0,1] op_sel_hi:[0,1,0]
	v_pk_fma_f16 v38, 0x36a6, v28, v38 op_sel:[0,0,1] op_sel_hi:[0,1,0] neg_lo:[0,0,1] neg_hi:[0,0,1]
	v_pk_mul_f16 v39, 0xbbeb, v31 op_sel_hi:[0,1]
	v_add_f16_e32 v47, v47, v48
	v_add_f16_e32 v46, v57, v46
	v_mul_f16_e32 v44, 0xb93d, v24
	v_add_f16_e32 v35, v54, v35
	v_pk_add_f16 v9, v9, v13
	v_pk_add_f16 v13, v8, v16
	v_bfi_b32 v16, 0xffff, v37, v38
	v_pk_fma_f16 v40, 0xb08e, v30, v39 op_sel:[0,0,1] op_sel_hi:[0,1,0]
	v_pk_fma_f16 v39, 0xb08e, v30, v39 op_sel:[0,0,1] op_sel_hi:[0,1,0] neg_lo:[0,0,1] neg_hi:[0,0,1]
	v_pk_mul_f16 v41, 0xba0c, v32 op_sel_hi:[0,1]
	v_add_f16_e32 v46, v46, v47
	v_add_f16_e32 v43, v44, v45
	;; [unrolled: 1-line block ×3, first 2 shown]
	v_pk_add_f16 v9, v9, v14
	v_pk_add_f16 v13, v16, v13
	v_bfi_b32 v14, 0xffff, v40, v39
	v_pk_fma_f16 v16, 0xb93d, v23, v41 op_sel:[0,0,1] op_sel_hi:[0,1,0]
	v_pk_fma_f16 v36, 0xb93d, v23, v41 op_sel:[0,0,1] op_sel_hi:[0,1,0] neg_lo:[0,0,1] neg_hi:[0,0,1]
	v_pk_mul_f16 v41, 0xbbad, v25 op_sel_hi:[0,1]
	v_add_f16_e32 v17, v43, v46
	v_pk_add_f16 v9, v9, v11
	v_pk_add_f16 v11, v14, v13
	v_bfi_b32 v13, 0xffff, v16, v36
	v_pk_fma_f16 v14, 0xb482, v27, v41 op_sel:[0,0,1] op_sel_hi:[0,1,0]
	s_wait_alu 0xf1ff
	v_alignbit_b32 v43, s0, v8, 16
	v_pk_mul_f16 v44, 0x3abb, v28 op_sel_hi:[0,1]
	v_pk_fma_f16 v41, 0xb482, v27, v41 op_sel:[0,0,1] op_sel_hi:[0,1,0] neg_lo:[0,1,0] neg_hi:[0,1,0]
	v_mul_f16_e32 v65, 0x3b47, v31
	v_pk_add_f16 v9, v9, v12
	v_pk_add_f16 v11, v13, v11
	;; [unrolled: 1-line block ×3, first 2 shown]
	v_pk_fma_f16 v13, 0x3853, v29, v44 op_sel:[0,0,1] op_sel_hi:[0,1,0]
	v_pk_mul_f16 v43, 0xb93d, v30 op_sel_hi:[0,1]
	v_pk_add_f16 v41, v8, v41 op_sel:[1,0] op_sel_hi:[0,1]
	v_pk_fma_f16 v44, 0x3853, v29, v44 op_sel:[0,0,1] op_sel_hi:[0,1,0] neg_lo:[0,1,0] neg_hi:[0,1,0]
	v_mul_f16_e32 v67, 0xb853, v32
	v_sub_f16_e32 v52, v52, v65
	v_pk_fma_f16 v47, 0xba0c, v31, v43 op_sel:[0,0,1] op_sel_hi:[0,1,0]
	v_pk_mul_f16 v49, 0x36a6, v23 op_sel_hi:[0,1]
	v_pk_add_f16 v41, v44, v41
	v_pk_fma_f16 v43, 0xba0c, v31, v43 op_sel:[0,0,1] op_sel_hi:[0,1,0] neg_lo:[0,1,0] neg_hi:[0,1,0]
	v_mul_f16_e32 v61, 0xba0c, v26
	v_add_f16_e32 v52, v52, v53
	v_sub_f16_e32 v51, v51, v67
	v_alignbit_b32 v14, s0, v14, 16
	v_pk_add_f16 v41, v43, v41
	v_pk_fma_f16 v43, 0x3b47, v32, v49 op_sel:[0,0,1] op_sel_hi:[0,1,0] neg_lo:[0,1,0] neg_hi:[0,1,0]
	v_pk_mul_f16 v27, 0xba0c, v27 op_sel_hi:[0,1]
	v_add_f16_e32 v51, v51, v52
	v_sub_f16_e32 v50, v50, v61
	v_pk_add_f16 v12, v13, v12
	v_pk_add_f16 v41, v43, v41
	;; [unrolled: 1-line block ×3, first 2 shown]
	v_alignbit_b32 v13, s0, v13, 16
	v_pk_fma_f16 v43, 0xb93d, v25, v27 op_sel:[0,0,1] op_sel_hi:[0,1,0] neg_lo:[0,0,1] neg_hi:[0,0,1]
	v_pk_fma_f16 v25, 0xb93d, v25, v27 op_sel:[0,0,1] op_sel_hi:[0,1,0]
	v_pk_mul_f16 v27, 0x3beb, v29 op_sel_hi:[0,1]
	v_add_f16_e32 v48, v50, v51
	v_pk_add_f16 v12, v47, v12
	v_pk_fma_f16 v51, 0x3b47, v32, v49 op_sel:[0,0,1] op_sel_hi:[0,1,0]
	v_pk_mul_f16 v52, 0xb08e, v24 op_sel_hi:[0,1]
	v_pk_add_f16 v13, v13, v14
	v_alignbit_b32 v14, s0, v47, 16
	v_bfi_b32 v44, 0xffff, v43, v25
	v_pk_fma_f16 v47, 0xb08e, v28, v27 op_sel:[0,0,1] op_sel_hi:[0,1,0] neg_lo:[0,0,1] neg_hi:[0,0,1]
	v_pk_fma_f16 v27, 0xb08e, v28, v27 op_sel:[0,0,1] op_sel_hi:[0,1,0]
	v_pk_mul_f16 v28, 0xb853, v31 op_sel_hi:[0,1]
	v_pk_add_f16 v9, v9, v33
	v_pk_fma_f16 v33, 0xbbeb, v26, v52 op_sel:[0,0,1] op_sel_hi:[0,1,0]
	v_pack_b32_f16 v17, v17, v48
	v_pk_add_f16 v13, v14, v13
	v_alignbit_b32 v14, s0, v51, 16
	v_pk_add_f16 v31, v8, v44
	v_bfi_b32 v44, 0xffff, v47, v27
	v_pk_fma_f16 v48, 0x3abb, v30, v28 op_sel:[0,0,1] op_sel_hi:[0,1,0] neg_lo:[0,0,1] neg_hi:[0,0,1]
	v_pk_fma_f16 v28, 0x3abb, v30, v28 op_sel:[0,0,1] op_sel_hi:[0,1,0]
	v_pk_add_f16 v13, v14, v13
	v_alignbit_b32 v14, s0, v33, 16
	v_pk_add_f16 v30, v44, v31
	v_pk_add_f16 v25, v8, v25
	v_bfi_b32 v31, 0xffff, v48, v28
	v_bfi_b32 v15, 0xffff, v18, v15
	v_pk_add_f16 v13, v14, v13
	v_pk_mul_f16 v14, 0xb482, v32 op_sel_hi:[0,1]
	v_pk_add_f16 v25, v27, v25
	v_pk_add_f16 v30, v31, v30
	;; [unrolled: 1-line block ×3, first 2 shown]
	v_pk_mul_f16 v42, 0xb482, v26 op_sel_hi:[0,1]
	v_pk_fma_f16 v18, 0xbbad, v23, v14 op_sel:[0,0,1] op_sel_hi:[0,1,0] neg_lo:[0,0,1] neg_hi:[0,0,1]
	v_pk_fma_f16 v14, 0xbbad, v23, v14 op_sel:[0,0,1] op_sel_hi:[0,1,0]
	v_pk_add_f16 v8, v8, v15
	v_pk_add_f16 v23, v47, v31
	v_bfi_b32 v15, 0xffff, v38, v37
	v_pk_fma_f16 v29, 0xbbeb, v26, v52 op_sel:[0,0,1] op_sel_hi:[0,1,0] neg_lo:[0,1,0] neg_hi:[0,1,0]
	v_pk_mul_f16 v26, 0x3b47, v26 op_sel_hi:[0,1]
	v_pk_add_f16 v25, v28, v25
	v_pk_add_f16 v23, v48, v23
	v_pk_fma_f16 v46, 0xbbad, v24, v42 op_sel:[0,0,1] op_sel_hi:[0,1,0]
	v_pk_fma_f16 v42, 0xbbad, v24, v42 op_sel:[0,0,1] op_sel_hi:[0,1,0] neg_lo:[0,0,1] neg_hi:[0,0,1]
	v_pk_add_f16 v8, v15, v8
	v_bfi_b32 v15, 0xffff, v39, v40
	v_pk_add_f16 v12, v51, v12
	v_bfi_b32 v27, 0xffff, v18, v14
	v_pk_fma_f16 v28, 0x36a6, v24, v26 op_sel:[0,0,1] op_sel_hi:[0,1,0] neg_lo:[0,0,1] neg_hi:[0,0,1]
	v_pk_fma_f16 v24, 0x36a6, v24, v26 op_sel:[0,0,1] op_sel_hi:[0,1,0]
	v_pk_add_f16 v18, v18, v23
	v_pk_add_f16 v14, v14, v25
	v_bfi_b32 v50, 0xffff, v46, v42
	v_pk_add_f16 v8, v15, v8
	v_bfi_b32 v15, 0xffff, v36, v16
	v_pk_add_f16 v12, v33, v12
	v_pk_add_f16 v29, v29, v41
	;; [unrolled: 1-line block ×5, first 2 shown]
	v_bfi_b32 v23, 0xffff, v28, v24
	v_mad_u32_u24 v45, v5, 40, v0
	v_pk_add_f16 v11, v50, v11
	v_pk_add_f16 v8, v15, v8
	v_bfi_b32 v15, 0xffff, v42, v46
	v_pack_b32_f16 v33, v35, v34
	v_alignbit_b32 v12, v12, v29, 16
	v_pack_b32_f16 v13, v13, v29
	v_bfi_b32 v14, 0xffff, v14, v18
	v_pk_add_f16 v16, v23, v16
	v_perm_b32 v18, v20, v10, 0x5040100
	v_pk_add_f16 v8, v15, v8
	v_perm_b32 v15, v19, v6, 0x5040100
	ds_store_2addr_b32 v45, v9, v11 offset1:1
	ds_store_2addr_b32 v45, v33, v17 offset0:2 offset1:3
	ds_store_2addr_b32 v45, v13, v12 offset0:5 offset1:6
	ds_store_b32 v45, v14 offset:16
	ds_store_2addr_b32 v45, v16, v18 offset0:7 offset1:8
	ds_store_2addr_b32 v45, v15, v8 offset0:9 offset1:10
.LBB0_21:
	s_wait_alu 0xfffe
	s_or_b32 exec_lo, exec_lo, s1
	v_and_b32_e32 v8, 0xff, v5
	global_wb scope:SCOPE_SE
	s_wait_dscnt 0x0
	s_barrier_signal -1
	s_barrier_wait -1
	global_inv scope:SCOPE_SE
	v_mul_lo_u16 v8, 0x75, v8
	v_cmp_gt_u32_e64 s0, 33, v5
	s_delay_alu instid0(VALU_DEP_2) | instskip(NEXT) | instid1(VALU_DEP_1)
	v_lshrrev_b16 v8, 8, v8
	v_sub_nc_u16 v9, v5, v8
	s_delay_alu instid0(VALU_DEP_1) | instskip(NEXT) | instid1(VALU_DEP_1)
	v_lshrrev_b16 v9, 1, v9
	v_and_b32_e32 v9, 0x7f, v9
	s_delay_alu instid0(VALU_DEP_1) | instskip(NEXT) | instid1(VALU_DEP_1)
	v_add_nc_u16 v8, v9, v8
	v_lshrrev_b16 v18, 3, v8
	s_delay_alu instid0(VALU_DEP_1) | instskip(SKIP_1) | instid1(VALU_DEP_2)
	v_mul_lo_u16 v8, v18, 11
	v_and_b32_e32 v18, 0xffff, v18
	v_sub_nc_u16 v8, v5, v8
	s_delay_alu instid0(VALU_DEP_2) | instskip(NEXT) | instid1(VALU_DEP_2)
	v_mul_u32_u24_e32 v18, 0x160, v18
	v_and_b32_e32 v28, 0xff, v8
	s_delay_alu instid0(VALU_DEP_1) | instskip(SKIP_1) | instid1(VALU_DEP_2)
	v_mul_u32_u24_e32 v8, 7, v28
	v_lshlrev_b32_e32 v28, 2, v28
	v_lshlrev_b32_e32 v8, 2, v8
	s_delay_alu instid0(VALU_DEP_2)
	v_add3_u32 v28, 0, v18, v28
	s_clause 0x1
	global_load_b128 v[11:14], v8, s[8:9]
	global_load_b96 v[15:17], v8, s[8:9] offset:16
	ds_load_2addr_b32 v[8:9], v22 offset0:74 offset1:129
	ds_load_2addr_b32 v[22:23], v0 offset1:55
	ds_load_2addr_b32 v[24:25], v0 offset0:110 offset1:165
	ds_load_2addr_b32 v[26:27], v21 offset0:92 offset1:147
	global_wb scope:SCOPE_SE
	s_wait_loadcnt_dscnt 0x0
	s_barrier_signal -1
	s_barrier_wait -1
	global_inv scope:SCOPE_SE
	v_lshrrev_b32_e32 v29, 16, v9
	v_lshrrev_b32_e32 v30, 16, v23
	v_lshrrev_b32_e32 v31, 16, v24
	v_lshrrev_b32_e32 v32, 16, v25
	v_lshrrev_b32_e32 v33, 16, v26
	v_lshrrev_b32_e32 v34, 16, v27
	v_lshrrev_b32_e32 v35, 16, v8
	v_lshrrev_b32_e32 v36, 16, v22
	v_lshrrev_b32_e32 v18, 16, v11
	v_lshrrev_b32_e32 v37, 16, v12
	v_lshrrev_b32_e32 v38, 16, v13
	v_lshrrev_b32_e32 v39, 16, v14
	v_lshrrev_b32_e32 v40, 16, v15
	v_lshrrev_b32_e32 v41, 16, v16
	v_lshrrev_b32_e32 v42, 16, v17
	v_mul_f16_e32 v43, v18, v30
	v_mul_f16_e32 v18, v18, v23
	;; [unrolled: 1-line block ×14, first 2 shown]
	v_fmac_f16_e32 v43, v11, v23
	v_fma_f16 v11, v11, v30, -v18
	v_fmac_f16_e32 v44, v12, v24
	v_fma_f16 v12, v12, v31, -v37
	;; [unrolled: 2-line block ×7, first 2 shown]
	v_sub_f16_e32 v16, v22, v46
	v_sub_f16_e32 v14, v36, v14
	;; [unrolled: 1-line block ×8, first 2 shown]
	v_fma_f16 v22, v22, 2.0, -v16
	v_fma_f16 v24, v36, 2.0, -v14
	;; [unrolled: 1-line block ×8, first 2 shown]
	v_add_f16_e32 v8, v16, v8
	v_sub_f16_e32 v29, v14, v17
	v_add_f16_e32 v30, v18, v9
	v_sub_f16_e32 v23, v15, v23
	v_sub_f16_e32 v25, v22, v25
	;; [unrolled: 1-line block ×3, first 2 shown]
	v_fma_f16 v16, v16, 2.0, -v8
	v_fma_f16 v14, v14, 2.0, -v29
	v_sub_f16_e32 v27, v26, v27
	v_sub_f16_e32 v12, v11, v13
	v_fma_f16 v13, v18, 2.0, -v30
	v_fma_f16 v15, v15, 2.0, -v23
	v_fmamk_f16 v9, v30, 0x39a8, v8
	v_fmamk_f16 v18, v23, 0x39a8, v29
	v_fma_f16 v32, v22, 2.0, -v25
	v_fma_f16 v24, v24, 2.0, -v31
	;; [unrolled: 1-line block ×4, first 2 shown]
	v_fmamk_f16 v11, v13, 0xb9a8, v16
	v_fmamk_f16 v17, v15, 0xb9a8, v14
	v_add_f16_e32 v12, v25, v12
	v_sub_f16_e32 v22, v31, v27
	v_fmac_f16_e32 v9, 0x39a8, v23
	v_fmac_f16_e32 v18, 0xb9a8, v30
	v_sub_f16_e32 v23, v32, v26
	v_sub_f16_e32 v26, v24, v33
	v_fmac_f16_e32 v11, 0x39a8, v15
	v_fmac_f16_e32 v17, 0xb9a8, v13
	v_fma_f16 v13, v25, 2.0, -v12
	v_fma_f16 v15, v31, 2.0, -v22
	;; [unrolled: 1-line block ×8, first 2 shown]
	v_pack_b32_f16 v27, v12, v22
	v_pack_b32_f16 v29, v9, v18
	;; [unrolled: 1-line block ×8, first 2 shown]
	ds_store_2addr_b32 v28, v27, v29 offset0:66 offset1:77
	ds_store_2addr_b32 v28, v13, v8 offset0:22 offset1:33
	;; [unrolled: 1-line block ×3, first 2 shown]
	ds_store_2addr_b32 v28, v24, v14 offset1:11
	global_wb scope:SCOPE_SE
	s_wait_dscnt 0x0
	s_barrier_signal -1
	s_barrier_wait -1
	global_inv scope:SCOPE_SE
	ds_load_2addr_b32 v[13:14], v0 offset1:88
	ds_load_2addr_b32 v[15:16], v21 offset0:48 offset1:136
	ds_load_b32 v23, v0 offset:1408
	s_and_saveexec_b32 s1, s0
	s_cbranch_execz .LBB0_23
; %bb.22:
	v_add_nc_u32_e32 v8, 0x200, v0
	ds_load_2addr_b32 v[11:12], v0 offset0:55 offset1:143
	ds_load_b32 v6, v0 offset:1628
	ds_load_2addr_b32 v[9:10], v8 offset0:103 offset1:191
	s_wait_dscnt 0x2
	v_lshrrev_b32_e32 v17, 16, v11
	s_wait_dscnt 0x1
	v_lshrrev_b32_e32 v19, 16, v6
	v_lshrrev_b32_e32 v22, 16, v12
	s_wait_dscnt 0x0
	v_lshrrev_b32_e32 v18, 16, v9
	v_lshrrev_b32_e32 v20, 16, v10
.LBB0_23:
	s_wait_alu 0xfffe
	s_or_b32 exec_lo, exec_lo, s1
	v_dual_mov_b32 v8, 0 :: v_dual_add_nc_u32 v21, 0x200, v0
	s_wait_dscnt 0x0
	v_lshrrev_b32_e32 v28, 16, v23
	v_lshrrev_b32_e32 v29, 16, v16
	;; [unrolled: 1-line block ×3, first 2 shown]
	v_lshlrev_b64_e32 v[24:25], 2, v[7:8]
	v_lshrrev_b32_e32 v31, 16, v14
	v_lshrrev_b32_e32 v7, 16, v13
	s_delay_alu instid0(VALU_DEP_3) | instskip(SKIP_1) | instid1(VALU_DEP_4)
	v_add_co_u32 v24, s1, s8, v24
	s_wait_alu 0xf1ff
	v_add_co_ci_u32_e64 v25, s1, s9, v25, s1
	global_load_b128 v[24:27], v[24:25], off offset:308
	global_wb scope:SCOPE_SE
	s_wait_loadcnt 0x0
	s_barrier_signal -1
	s_barrier_wait -1
	global_inv scope:SCOPE_SE
	v_lshrrev_b32_e32 v32, 16, v24
	v_lshrrev_b32_e32 v33, 16, v25
	;; [unrolled: 1-line block ×4, first 2 shown]
	s_delay_alu instid0(VALU_DEP_4)
	v_mul_f16_e32 v36, v32, v31
	v_mul_f16_e32 v32, v32, v14
	v_mul_f16_e32 v37, v33, v30
	v_mul_f16_e32 v33, v33, v15
	v_mul_f16_e32 v38, v34, v29
	v_mul_f16_e32 v34, v34, v16
	v_mul_f16_e32 v39, v35, v28
	v_mul_f16_e32 v35, v35, v23
	v_fmac_f16_e32 v36, v24, v14
	v_fma_f16 v14, v24, v31, -v32
	v_fmac_f16_e32 v37, v25, v15
	v_fma_f16 v15, v25, v30, -v33
	;; [unrolled: 2-line block ×4, first 2 shown]
	v_add_f16_e32 v33, v7, v14
	v_add_f16_e32 v25, v37, v38
	;; [unrolled: 1-line block ×6, first 2 shown]
	v_sub_f16_e32 v26, v14, v16
	v_sub_f16_e32 v27, v15, v24
	;; [unrolled: 1-line block ×9, first 2 shown]
	v_fma_f16 v25, -0.5, v25, v13
	v_fmac_f16_e32 v13, -0.5, v30
	v_add_f16_e32 v15, v33, v15
	v_fma_f16 v30, -0.5, v34, v7
	v_sub_f16_e32 v36, v37, v38
	v_fmac_f16_e32 v7, -0.5, v42
	v_sub_f16_e32 v41, v16, v24
	v_sub_f16_e32 v43, v24, v16
	v_add_f16_e32 v23, v23, v37
	v_add_f16_e32 v28, v28, v29
	;; [unrolled: 1-line block ×3, first 2 shown]
	v_fmamk_f16 v32, v26, 0xbb9c, v25
	v_add_f16_e32 v15, v15, v24
	v_fmamk_f16 v24, v35, 0x3b9c, v30
	v_fmamk_f16 v33, v27, 0x3b9c, v13
	v_fmac_f16_e32 v13, 0xbb9c, v27
	v_fmamk_f16 v34, v36, 0xbb9c, v7
	v_fmac_f16_e32 v7, 0x3b9c, v36
	v_fmac_f16_e32 v25, 0x3b9c, v26
	;; [unrolled: 1-line block ×3, first 2 shown]
	v_add_f16_e32 v31, v40, v41
	v_add_f16_e32 v23, v23, v38
	v_fmac_f16_e32 v32, 0xb8b4, v27
	v_fmac_f16_e32 v24, 0x38b4, v36
	v_add_f16_e32 v14, v14, v43
	v_fmac_f16_e32 v33, 0xb8b4, v26
	v_fmac_f16_e32 v13, 0x38b4, v26
	;; [unrolled: 1-line block ×6, first 2 shown]
	v_add_f16_e32 v23, v23, v39
	v_add_f16_e32 v15, v15, v16
	v_fmac_f16_e32 v32, 0x34f2, v28
	v_fmac_f16_e32 v24, 0x34f2, v31
	;; [unrolled: 1-line block ×8, first 2 shown]
	v_pack_b32_f16 v14, v23, v15
	v_pack_b32_f16 v15, v32, v24
	;; [unrolled: 1-line block ×5, first 2 shown]
	ds_store_2addr_b32 v0, v14, v15 offset1:88
	ds_store_2addr_b32 v21, v16, v7 offset0:48 offset1:136
	ds_store_b32 v0, v13 offset:1408
	s_and_saveexec_b32 s1, s0
	s_cbranch_execz .LBB0_25
; %bb.24:
	v_cndmask_b32_e64 v7, 0xffffffdf, 55, s0
	s_delay_alu instid0(VALU_DEP_1) | instskip(NEXT) | instid1(VALU_DEP_1)
	v_add_lshl_u32 v7, v5, v7, 2
	v_lshlrev_b64_e32 v[7:8], 2, v[7:8]
	s_delay_alu instid0(VALU_DEP_1) | instskip(SKIP_1) | instid1(VALU_DEP_2)
	v_add_co_u32 v7, s0, s8, v7
	s_wait_alu 0xf1ff
	v_add_co_ci_u32_e64 v8, s0, s9, v8, s0
	global_load_b128 v[13:16], v[7:8], off offset:308
	s_wait_loadcnt 0x0
	v_lshrrev_b32_e32 v7, 16, v14
	v_lshrrev_b32_e32 v8, 16, v13
	v_lshrrev_b32_e32 v23, 16, v15
	v_lshrrev_b32_e32 v24, 16, v16
	s_delay_alu instid0(VALU_DEP_4) | instskip(NEXT) | instid1(VALU_DEP_4)
	v_mul_f16_e32 v25, v9, v7
	v_mul_f16_e32 v26, v12, v8
	s_delay_alu instid0(VALU_DEP_4) | instskip(NEXT) | instid1(VALU_DEP_4)
	v_mul_f16_e32 v27, v10, v23
	v_mul_f16_e32 v28, v6, v24
	;; [unrolled: 1-line block ×6, first 2 shown]
	v_fma_f16 v18, v18, v14, -v25
	v_fma_f16 v22, v22, v13, -v26
	;; [unrolled: 1-line block ×4, first 2 shown]
	v_fmac_f16_e32 v8, v12, v13
	v_fmac_f16_e32 v24, v6, v16
	;; [unrolled: 1-line block ×4, first 2 shown]
	v_sub_f16_e32 v6, v18, v22
	v_sub_f16_e32 v9, v20, v19
	v_add_f16_e32 v12, v22, v19
	v_sub_f16_e32 v14, v7, v8
	v_sub_f16_e32 v15, v23, v24
	v_add_f16_e32 v16, v8, v24
	v_add_f16_e32 v29, v18, v20
	v_add_f16_e32 v32, v7, v23
	v_sub_f16_e32 v10, v8, v24
	v_sub_f16_e32 v26, v22, v19
	;; [unrolled: 1-line block ×5, first 2 shown]
	v_add_f16_e32 v22, v17, v22
	v_add_f16_e32 v8, v11, v8
	;; [unrolled: 1-line block ×3, first 2 shown]
	v_fma_f16 v9, -0.5, v12, v17
	v_add_f16_e32 v12, v14, v15
	v_fma_f16 v14, -0.5, v16, v11
	v_fma_f16 v16, -0.5, v29, v17
	;; [unrolled: 1-line block ×3, first 2 shown]
	v_sub_f16_e32 v13, v7, v23
	v_sub_f16_e32 v25, v18, v20
	;; [unrolled: 1-line block ×3, first 2 shown]
	v_add_f16_e32 v15, v27, v28
	v_add_f16_e32 v18, v22, v18
	v_add_f16_e32 v7, v8, v7
	v_fmamk_f16 v27, v10, 0x3b9c, v16
	v_fmamk_f16 v28, v26, 0xbb9c, v11
	;; [unrolled: 1-line block ×4, first 2 shown]
	v_fmac_f16_e32 v9, 0x3b9c, v13
	v_fmac_f16_e32 v14, 0xbb9c, v25
	;; [unrolled: 1-line block ×4, first 2 shown]
	v_add_f16_e32 v17, v30, v31
	v_add_f16_e32 v18, v18, v20
	;; [unrolled: 1-line block ×3, first 2 shown]
	v_fmac_f16_e32 v27, 0x38b4, v13
	v_fmac_f16_e32 v28, 0xb8b4, v25
	;; [unrolled: 1-line block ×8, first 2 shown]
	v_add_f16_e32 v18, v18, v19
	v_add_f16_e32 v7, v7, v24
	v_fmac_f16_e32 v27, 0x34f2, v15
	v_fmac_f16_e32 v28, 0x34f2, v17
	;; [unrolled: 1-line block ×8, first 2 shown]
	v_pack_b32_f16 v6, v7, v18
	v_pack_b32_f16 v7, v28, v27
	;; [unrolled: 1-line block ×5, first 2 shown]
	ds_store_2addr_b32 v0, v6, v7 offset0:55 offset1:143
	ds_store_2addr_b32 v21, v8, v9 offset0:103 offset1:191
	ds_store_b32 v0, v10 offset:1628
.LBB0_25:
	s_wait_alu 0xfffe
	s_or_b32 exec_lo, exec_lo, s1
	global_wb scope:SCOPE_SE
	s_wait_dscnt 0x0
	s_barrier_signal -1
	s_barrier_wait -1
	global_inv scope:SCOPE_SE
	s_and_saveexec_b32 s0, vcc_lo
	s_cbranch_execz .LBB0_27
; %bb.26:
	v_mul_lo_u32 v0, s3, v3
	v_mul_lo_u32 v7, s2, v4
	v_mad_co_u64_u32 v[3:4], null, s2, v3, 0
	v_mov_b32_e32 v6, 0
	v_lshl_add_u32 v23, v5, 2, 0
	v_add_nc_u32_e32 v17, 0x113, v5
	v_add_nc_u32_e32 v21, 0x14a, v5
	;; [unrolled: 1-line block ×3, first 2 shown]
	v_add3_u32 v4, v4, v7, v0
	v_add_nc_u32_e32 v7, 0x6e, v5
	v_lshlrev_b64_e32 v[0:1], 2, v[1:2]
	v_lshlrev_b64_e32 v[13:14], 2, v[5:6]
	v_mov_b32_e32 v8, v6
	v_lshlrev_b64_e32 v[9:10], 2, v[3:4]
	v_dual_mov_b32 v3, v6 :: v_dual_add_nc_u32 v2, 55, v5
	v_mov_b32_e32 v16, v6
	ds_load_2addr_b32 v[11:12], v23 offset1:55
	v_mov_b32_e32 v18, v6
	v_add_co_u32 v4, vcc_lo, s6, v9
	s_wait_alu 0xfffd
	v_add_co_ci_u32_e32 v9, vcc_lo, s7, v10, vcc_lo
	v_lshlrev_b64_e32 v[2:3], 2, v[2:3]
	s_delay_alu instid0(VALU_DEP_3) | instskip(SKIP_1) | instid1(VALU_DEP_3)
	v_add_co_u32 v25, vcc_lo, v4, v0
	s_wait_alu 0xfffd
	v_add_co_ci_u32_e32 v26, vcc_lo, v9, v1, vcc_lo
	v_lshlrev_b64_e32 v[0:1], 2, v[7:8]
	s_delay_alu instid0(VALU_DEP_3) | instskip(SKIP_1) | instid1(VALU_DEP_3)
	v_add_co_u32 v7, vcc_lo, v25, v13
	s_wait_alu 0xfffd
	v_add_co_ci_u32_e32 v8, vcc_lo, v26, v14, vcc_lo
	v_dual_mov_b32 v14, v6 :: v_dual_add_nc_u32 v13, 0xa5, v5
	v_add_nc_u32_e32 v4, 0x200, v23
	v_add_co_u32 v2, vcc_lo, v25, v2
	s_wait_alu 0xfffd
	v_add_co_ci_u32_e32 v3, vcc_lo, v26, v3, vcc_lo
	v_lshlrev_b64_e32 v[13:14], 2, v[13:14]
	ds_load_2addr_b32 v[19:20], v4 offset0:92 offset1:147
	v_add_nc_u32_e32 v4, 0x400, v23
	ds_load_2addr_b32 v[9:10], v23 offset0:110 offset1:165
	v_add_co_u32 v0, vcc_lo, v25, v0
	v_lshlrev_b64_e32 v[15:16], 2, v[15:16]
	v_dual_mov_b32 v22, v6 :: v_dual_add_nc_u32 v5, 0x181, v5
	s_wait_alu 0xfffd
	v_add_co_ci_u32_e32 v1, vcc_lo, v26, v1, vcc_lo
	v_add_co_u32 v13, vcc_lo, v25, v13
	v_lshlrev_b64_e32 v[17:18], 2, v[17:18]
	ds_load_2addr_b32 v[23:24], v4 offset0:74 offset1:129
	s_wait_alu 0xfffd
	v_add_co_ci_u32_e32 v14, vcc_lo, v26, v14, vcc_lo
	v_add_co_u32 v15, vcc_lo, v25, v15
	v_lshlrev_b64_e32 v[21:22], 2, v[21:22]
	s_wait_alu 0xfffd
	v_add_co_ci_u32_e32 v16, vcc_lo, v26, v16, vcc_lo
	v_add_co_u32 v17, vcc_lo, v25, v17
	v_lshlrev_b64_e32 v[4:5], 2, v[5:6]
	s_wait_alu 0xfffd
	v_add_co_ci_u32_e32 v18, vcc_lo, v26, v18, vcc_lo
	v_add_co_u32 v21, vcc_lo, v25, v21
	s_wait_alu 0xfffd
	v_add_co_ci_u32_e32 v22, vcc_lo, v26, v22, vcc_lo
	v_add_co_u32 v4, vcc_lo, v25, v4
	s_wait_alu 0xfffd
	v_add_co_ci_u32_e32 v5, vcc_lo, v26, v5, vcc_lo
	s_wait_dscnt 0x3
	s_clause 0x1
	global_store_b32 v[7:8], v11, off
	global_store_b32 v[2:3], v12, off
	s_wait_dscnt 0x1
	s_clause 0x3
	global_store_b32 v[0:1], v9, off
	global_store_b32 v[13:14], v10, off
	;; [unrolled: 1-line block ×4, first 2 shown]
	s_wait_dscnt 0x0
	s_clause 0x1
	global_store_b32 v[21:22], v23, off
	global_store_b32 v[4:5], v24, off
.LBB0_27:
	s_nop 0
	s_sendmsg sendmsg(MSG_DEALLOC_VGPRS)
	s_endpgm
	.section	.rodata,"a",@progbits
	.p2align	6, 0x0
	.amdhsa_kernel fft_rtc_back_len440_factors_11_8_5_wgs_55_tpt_55_half_op_CI_CI_unitstride_sbrr_C2R_dirReg
		.amdhsa_group_segment_fixed_size 0
		.amdhsa_private_segment_fixed_size 0
		.amdhsa_kernarg_size 104
		.amdhsa_user_sgpr_count 2
		.amdhsa_user_sgpr_dispatch_ptr 0
		.amdhsa_user_sgpr_queue_ptr 0
		.amdhsa_user_sgpr_kernarg_segment_ptr 1
		.amdhsa_user_sgpr_dispatch_id 0
		.amdhsa_user_sgpr_private_segment_size 0
		.amdhsa_wavefront_size32 1
		.amdhsa_uses_dynamic_stack 0
		.amdhsa_enable_private_segment 0
		.amdhsa_system_sgpr_workgroup_id_x 1
		.amdhsa_system_sgpr_workgroup_id_y 0
		.amdhsa_system_sgpr_workgroup_id_z 0
		.amdhsa_system_sgpr_workgroup_info 0
		.amdhsa_system_vgpr_workitem_id 0
		.amdhsa_next_free_vgpr 69
		.amdhsa_next_free_sgpr 39
		.amdhsa_reserve_vcc 1
		.amdhsa_float_round_mode_32 0
		.amdhsa_float_round_mode_16_64 0
		.amdhsa_float_denorm_mode_32 3
		.amdhsa_float_denorm_mode_16_64 3
		.amdhsa_fp16_overflow 0
		.amdhsa_workgroup_processor_mode 1
		.amdhsa_memory_ordered 1
		.amdhsa_forward_progress 0
		.amdhsa_round_robin_scheduling 0
		.amdhsa_exception_fp_ieee_invalid_op 0
		.amdhsa_exception_fp_denorm_src 0
		.amdhsa_exception_fp_ieee_div_zero 0
		.amdhsa_exception_fp_ieee_overflow 0
		.amdhsa_exception_fp_ieee_underflow 0
		.amdhsa_exception_fp_ieee_inexact 0
		.amdhsa_exception_int_div_zero 0
	.end_amdhsa_kernel
	.text
.Lfunc_end0:
	.size	fft_rtc_back_len440_factors_11_8_5_wgs_55_tpt_55_half_op_CI_CI_unitstride_sbrr_C2R_dirReg, .Lfunc_end0-fft_rtc_back_len440_factors_11_8_5_wgs_55_tpt_55_half_op_CI_CI_unitstride_sbrr_C2R_dirReg
                                        ; -- End function
	.section	.AMDGPU.csdata,"",@progbits
; Kernel info:
; codeLenInByte = 7828
; NumSgprs: 41
; NumVgprs: 69
; ScratchSize: 0
; MemoryBound: 0
; FloatMode: 240
; IeeeMode: 1
; LDSByteSize: 0 bytes/workgroup (compile time only)
; SGPRBlocks: 5
; VGPRBlocks: 8
; NumSGPRsForWavesPerEU: 41
; NumVGPRsForWavesPerEU: 69
; Occupancy: 16
; WaveLimiterHint : 1
; COMPUTE_PGM_RSRC2:SCRATCH_EN: 0
; COMPUTE_PGM_RSRC2:USER_SGPR: 2
; COMPUTE_PGM_RSRC2:TRAP_HANDLER: 0
; COMPUTE_PGM_RSRC2:TGID_X_EN: 1
; COMPUTE_PGM_RSRC2:TGID_Y_EN: 0
; COMPUTE_PGM_RSRC2:TGID_Z_EN: 0
; COMPUTE_PGM_RSRC2:TIDIG_COMP_CNT: 0
	.text
	.p2alignl 7, 3214868480
	.fill 96, 4, 3214868480
	.type	__hip_cuid_5afde0d6c6ecafad,@object ; @__hip_cuid_5afde0d6c6ecafad
	.section	.bss,"aw",@nobits
	.globl	__hip_cuid_5afde0d6c6ecafad
__hip_cuid_5afde0d6c6ecafad:
	.byte	0                               ; 0x0
	.size	__hip_cuid_5afde0d6c6ecafad, 1

	.ident	"AMD clang version 19.0.0git (https://github.com/RadeonOpenCompute/llvm-project roc-6.4.0 25133 c7fe45cf4b819c5991fe208aaa96edf142730f1d)"
	.section	".note.GNU-stack","",@progbits
	.addrsig
	.addrsig_sym __hip_cuid_5afde0d6c6ecafad
	.amdgpu_metadata
---
amdhsa.kernels:
  - .args:
      - .actual_access:  read_only
        .address_space:  global
        .offset:         0
        .size:           8
        .value_kind:     global_buffer
      - .offset:         8
        .size:           8
        .value_kind:     by_value
      - .actual_access:  read_only
        .address_space:  global
        .offset:         16
        .size:           8
        .value_kind:     global_buffer
      - .actual_access:  read_only
        .address_space:  global
        .offset:         24
        .size:           8
        .value_kind:     global_buffer
      - .actual_access:  read_only
        .address_space:  global
        .offset:         32
        .size:           8
        .value_kind:     global_buffer
      - .offset:         40
        .size:           8
        .value_kind:     by_value
      - .actual_access:  read_only
        .address_space:  global
        .offset:         48
        .size:           8
        .value_kind:     global_buffer
      - .actual_access:  read_only
        .address_space:  global
        .offset:         56
        .size:           8
        .value_kind:     global_buffer
      - .offset:         64
        .size:           4
        .value_kind:     by_value
      - .actual_access:  read_only
        .address_space:  global
        .offset:         72
        .size:           8
        .value_kind:     global_buffer
      - .actual_access:  read_only
        .address_space:  global
        .offset:         80
        .size:           8
        .value_kind:     global_buffer
      - .actual_access:  read_only
        .address_space:  global
        .offset:         88
        .size:           8
        .value_kind:     global_buffer
      - .actual_access:  write_only
        .address_space:  global
        .offset:         96
        .size:           8
        .value_kind:     global_buffer
    .group_segment_fixed_size: 0
    .kernarg_segment_align: 8
    .kernarg_segment_size: 104
    .language:       OpenCL C
    .language_version:
      - 2
      - 0
    .max_flat_workgroup_size: 55
    .name:           fft_rtc_back_len440_factors_11_8_5_wgs_55_tpt_55_half_op_CI_CI_unitstride_sbrr_C2R_dirReg
    .private_segment_fixed_size: 0
    .sgpr_count:     41
    .sgpr_spill_count: 0
    .symbol:         fft_rtc_back_len440_factors_11_8_5_wgs_55_tpt_55_half_op_CI_CI_unitstride_sbrr_C2R_dirReg.kd
    .uniform_work_group_size: 1
    .uses_dynamic_stack: false
    .vgpr_count:     69
    .vgpr_spill_count: 0
    .wavefront_size: 32
    .workgroup_processor_mode: 1
amdhsa.target:   amdgcn-amd-amdhsa--gfx1201
amdhsa.version:
  - 1
  - 2
...

	.end_amdgpu_metadata
